;; amdgpu-corpus repo=zjin-lcf/HeCBench kind=compiled arch=gfx906 opt=O3
	.amdgcn_target "amdgcn-amd-amdhsa--gfx906"
	.amdhsa_code_object_version 6
	.text
	.protected	_Z13parallelMatchPcPKjiS_S1_PhP5State ; -- Begin function _Z13parallelMatchPcPKjiS_S1_PhP5State
	.globl	_Z13parallelMatchPcPKjiS_S1_PhP5State
	.p2align	8
	.type	_Z13parallelMatchPcPKjiS_S1_PhP5State,@function
_Z13parallelMatchPcPKjiS_S1_PhP5State:  ; @_Z13parallelMatchPcPKjiS_S1_PhP5State
; %bb.0:
	s_load_dwordx8 s[8:15], s[4:5], 0x18
	s_add_u32 s0, s0, s7
	s_addc_u32 s1, s1, 0
	v_cmp_eq_u32_e32 vcc, 0, v0
	s_and_saveexec_b64 s[16:17], vcc
	s_cbranch_execz .LBB0_151
; %bb.1:
	s_waitcnt lgkmcnt(0)
	s_load_dword s7, s[10:11], 0x0
	s_waitcnt lgkmcnt(0)
	v_mov_b32_e32 v1, s7
	global_load_ubyte v2, v1, s[8:9]
	s_add_u32 s10, s8, s7
	v_mov_b32_e32 v1, 0
	s_addc_u32 s11, s9, 0
	s_waitcnt vmcnt(0)
	v_cmp_eq_u32_sdwa s[8:9], v2, v1 src0_sel:WORD_0 src1_sel:DWORD
	s_and_b64 vcc, exec, s[8:9]
	v_readfirstlane_b32 s34, v2
	s_cbranch_vccnz .LBB0_58
; %bb.2:
	s_mov_b64 s[8:9], 1
.LBB0_3:                                ; =>This Inner Loop Header: Depth=1
	s_add_u32 s18, s10, s8
	s_addc_u32 s19, s11, s9
	global_load_ubyte v2, v1, s[18:19]
	s_add_u32 s8, s8, 1
	s_addc_u32 s9, s9, 0
	s_waitcnt vmcnt(0)
	v_cmp_ne_u32_e32 vcc, 0, v2
	s_cbranch_vccnz .LBB0_3
; %bb.4:
	s_add_i32 s7, s8, -2
	s_cmpk_lt_u32 s7, 0xf9f
	s_cselect_b64 s[8:9], -1, 0
	s_and_b64 vcc, exec, s[8:9]
	s_cbranch_vccnz .LBB0_59
.LBB0_5:
.LBB0_6:
	s_mov_b32 s22, 16
	s_mov_b32 s8, 0
	v_mov_b32_e32 v1, 0
	v_mov_b32_e32 v15, 3
	v_bfrev_b32_e32 v3, 4.0
	v_mov_b32_e32 v5, 0x101
	s_mov_b32 s25, 0
	s_mov_b32 s24, 0
	s_branch .LBB0_8
.LBB0_7:                                ;   in Loop: Header=BB0_8 Depth=1
	s_andn2_b64 vcc, exec, s[18:19]
	s_cbranch_vccz .LBB0_53
.LBB0_8:                                ; =>This Loop Header: Depth=1
                                        ;     Child Loop BB0_14 Depth 2
                                        ;     Child Loop BB0_33 Depth 2
	;; [unrolled: 1-line block ×5, first 2 shown]
	v_mov_b32_e32 v2, s24
	ds_read_u8 v10, v2
	s_mov_b32 s7, s22
	s_waitcnt lgkmcnt(0)
	v_cmp_lt_i32_sdwa s[10:11], v10, v15 src0_sel:WORD_0 src1_sel:DWORD
	s_and_b64 vcc, exec, s[10:11]
	v_readfirstlane_b32 s26, v10
	s_cbranch_vccnz .LBB0_16
; %bb.9:                                ;   in Loop: Header=BB0_8 Depth=1
	s_and_b32 s27, 0xffff, s26
	s_cmp_lt_i32 s27, 21
	s_mov_b64 s[20:21], -1
	s_mov_b64 s[10:11], 0
	s_mov_b64 s[18:19], 0
                                        ; implicit-def: $sgpr22
                                        ; implicit-def: $sgpr23
	s_cbranch_scc1 .LBB0_23
; %bb.10:                               ;   in Loop: Header=BB0_8 Depth=1
	s_cmp_gt_i32 s27, 26
	s_cbranch_scc0 .LBB0_18
; %bb.11:                               ;   in Loop: Header=BB0_8 Depth=1
	s_cmp_eq_u32 s27, 27
	s_mov_b64 s[18:19], -1
                                        ; implicit-def: $sgpr22
	s_cbranch_scc0 .LBB0_19
; %bb.12:                               ;   in Loop: Header=BB0_8 Depth=1
	s_add_i32 s9, s7, -8
	v_mov_b32_e32 v8, s9
	s_sub_i32 s9, s7, 32
	s_sub_i32 s23, s7, 24
	v_mov_b32_e32 v9, s9
	s_waitcnt vmcnt(0)
	v_mov_b32_e32 v13, s23
	buffer_load_dword v2, v8, s[0:3], 0 offen
	buffer_load_dword v4, v8, s[0:3], 0 offen offset:4
	buffer_load_dword v6, v13, s[0:3], 0 offen
	buffer_load_dword v7, v13, s[0:3], 0 offen offset:4
	buffer_load_dword v11, v9, s[0:3], 0 offen
	buffer_load_dword v12, v9, s[0:3], 0 offen offset:4
	s_add_i32 s22, s7, -16
	s_waitcnt vmcnt(2)
	v_cmp_ne_u64_e32 vcc, 0, v[6:7]
	s_and_saveexec_b64 s[18:19], vcc
	s_cbranch_execz .LBB0_15
; %bb.13:                               ;   in Loop: Header=BB0_8 Depth=1
	v_mov_b32_e32 v13, s22
	buffer_load_dword v8, v13, s[0:3], 0 offen
	buffer_load_dword v9, v13, s[0:3], 0 offen offset:4
	s_mov_b64 s[20:21], 0
.LBB0_14:                               ;   Parent Loop BB0_8 Depth=1
                                        ; =>  This Inner Loop Header: Depth=2
	flat_load_dwordx2 v[13:14], v[6:7]
	s_waitcnt vmcnt(0) lgkmcnt(0)
	v_cmp_eq_u64_e32 vcc, 0, v[13:14]
	flat_store_dwordx2 v[6:7], v[8:9]
	v_mov_b32_e32 v6, v13
	s_or_b64 s[20:21], vcc, s[20:21]
	v_mov_b32_e32 v7, v14
	s_andn2_b64 exec, exec, s[20:21]
	s_cbranch_execnz .LBB0_14
.LBB0_15:                               ;   in Loop: Header=BB0_8 Depth=1
	s_or_b64 exec, exec, s[18:19]
	v_mov_b32_e32 v6, s9
	s_waitcnt vmcnt(0)
	buffer_store_dword v12, v6, s[0:3], 0 offen offset:4
	buffer_store_dword v11, v6, s[0:3], 0 offen
	v_mov_b32_e32 v6, s23
	buffer_store_dword v4, v6, s[0:3], 0 offen offset:4
	buffer_store_dword v2, v6, s[0:3], 0 offen
	s_mov_b64 s[18:19], 0
	s_mov_b32 s23, s25
	s_branch .LBB0_22
.LBB0_16:                               ;   in Loop: Header=BB0_8 Depth=1
	s_mov_b64 s[10:11], 0
                                        ; implicit-def: $sgpr22
                                        ; implicit-def: $sgpr23
	s_branch .LBB0_40
.LBB0_17:                               ;   in Loop: Header=BB0_8 Depth=1
	s_mov_b32 s25, s23
	s_mov_b64 s[18:19], -1
	s_and_b64 vcc, exec, s[10:11]
	s_cbranch_vccz .LBB0_7
	s_branch .LBB0_52
.LBB0_18:                               ;   in Loop: Header=BB0_8 Depth=1
                                        ; implicit-def: $sgpr22
	s_and_b64 vcc, exec, s[20:21]
	s_mov_b32 s23, s25
	s_cbranch_vccnz .LBB0_20
	s_branch .LBB0_22
.LBB0_19:                               ;   in Loop: Header=BB0_8 Depth=1
	s_mov_b32 s23, s25
	s_branch .LBB0_22
.LBB0_20:                               ;   in Loop: Header=BB0_8 Depth=1
	s_cmp_eq_u32 s27, 21
	s_mov_b64 s[18:19], -1
                                        ; implicit-def: $sgpr22
                                        ; implicit-def: $sgpr23
	s_cbranch_scc0 .LBB0_22
; %bb.21:                               ;   in Loop: Header=BB0_8 Depth=1
	s_mul_i32 s9, s25, 40
	v_mov_b32_e32 v6, s9
	s_mov_b64 s[18:19], src_shared_base
	v_mov_b32_e32 v4, s25
	v_mov_b32_e32 v2, v1
	v_add_u32_e32 v7, 0x1800, v6
	s_mov_b32 s20, s8
	s_add_i32 s18, s9, 0x1f40
	ds_write_b32 v6, v1 offset:8032
	s_add_i32 s22, s9, 0x1f48
	ds_write2_b64 v7, v[3:4], v[1:2] offset0:232 offset1:235
	ds_write_b8 v6, v1 offset:8036
	s_mov_b32 s9, s8
	s_mov_b32 s21, s8
	v_mov_b32_e32 v6, s8
	v_mov_b32_e32 v8, s20
	;; [unrolled: 1-line block ×5, first 2 shown]
	ds_write2_b64 v2, v[6:7], v[8:9] offset1:1
	v_mov_b32_e32 v4, s19
	v_mov_b32_e32 v6, s7
	;; [unrolled: 1-line block ×3, first 2 shown]
	s_add_i32 s23, s25, 1
	s_add_i32 s22, s7, 16
	buffer_store_dword v4, v6, s[0:3], 0 offen offset:4
	buffer_store_dword v7, v6, s[0:3], 0 offen
	buffer_store_dword v4, v6, s[0:3], 0 offen offset:12
	buffer_store_dword v2, v6, s[0:3], 0 offen offset:8
	s_mov_b64 s[18:19], 0
.LBB0_22:                               ;   in Loop: Header=BB0_8 Depth=1
	s_mov_b64 s[20:21], 0
.LBB0_23:                               ;   in Loop: Header=BB0_8 Depth=1
	s_and_b64 vcc, exec, s[20:21]
	s_cbranch_vccz .LBB0_26
; %bb.24:                               ;   in Loop: Header=BB0_8 Depth=1
	s_cmp_gt_i32 s27, 3
	s_cbranch_scc0 .LBB0_27
; %bb.25:                               ;   in Loop: Header=BB0_8 Depth=1
	s_cmp_lg_u32 s27, 4
	s_mov_b64 s[20:21], -1
	s_mov_b64 s[10:11], 0
	s_cselect_b64 s[18:19], -1, 0
	s_branch .LBB0_28
.LBB0_26:                               ;   in Loop: Header=BB0_8 Depth=1
	s_mov_b64 s[20:21], 0
	s_and_b64 vcc, exec, s[18:19]
	s_cbranch_vccnz .LBB0_29
	s_branch .LBB0_30
.LBB0_27:                               ;   in Loop: Header=BB0_8 Depth=1
	s_mov_b64 s[20:21], 0
	s_mov_b64 s[10:11], -1
.LBB0_28:                               ;   in Loop: Header=BB0_8 Depth=1
	s_add_i32 s22, s7, 16
	s_and_b64 vcc, exec, s[18:19]
	s_cbranch_vccz .LBB0_30
.LBB0_29:                               ;   in Loop: Header=BB0_8 Depth=1
	s_mul_i32 s9, s25, 40
	v_mov_b32_e32 v4, s9
	s_mov_b64 s[18:19], src_shared_base
	v_bfe_i32 v6, v10, 0, 8
	v_mov_b32_e32 v7, s25
	v_mov_b32_e32 v2, v1
	v_add_u32_e32 v8, 0x1800, v4
	s_mov_b32 s20, s8
	s_add_i32 s18, s9, 0x1f40
	ds_write_b32 v4, v1 offset:8032
	s_add_i32 s27, s9, 0x1f48
	ds_write2_b64 v8, v[6:7], v[1:2] offset0:232 offset1:235
	ds_write_b8 v4, v1 offset:8036
	s_mov_b32 s9, s8
	s_mov_b32 s21, s8
	v_mov_b32_e32 v6, s8
	v_mov_b32_e32 v8, s20
	;; [unrolled: 1-line block ×5, first 2 shown]
	s_add_i32 s23, s25, 1
	ds_write2_b64 v2, v[6:7], v[8:9] offset1:1
	v_mov_b32_e32 v4, s19
	v_mov_b32_e32 v6, s7
	;; [unrolled: 1-line block ×3, first 2 shown]
	s_mov_b64 s[20:21], 0
	buffer_store_dword v4, v6, s[0:3], 0 offen offset:4
	buffer_store_dword v7, v6, s[0:3], 0 offen
	buffer_store_dword v4, v6, s[0:3], 0 offen offset:12
	buffer_store_dword v2, v6, s[0:3], 0 offen offset:8
.LBB0_30:                               ;   in Loop: Header=BB0_8 Depth=1
	s_andn2_b64 vcc, exec, s[20:21]
	s_cbranch_vccz .LBB0_32
; %bb.31:                               ;   in Loop: Header=BB0_8 Depth=1
	s_and_b64 vcc, exec, s[10:11]
	s_cbranch_vccnz .LBB0_35
	s_branch .LBB0_39
.LBB0_32:                               ;   in Loop: Header=BB0_8 Depth=1
	s_add_i32 s22, s7, -16
	s_add_i32 s9, s7, -8
	v_mov_b32_e32 v2, s22
	v_mov_b32_e32 v4, s9
	s_sub_i32 s9, s7, 32
	s_sub_i32 s20, s7, 24
	v_mov_b32_e32 v6, s9
	v_mov_b32_e32 v16, s20
	buffer_load_dword v11, v2, s[0:3], 0 offen
	buffer_load_dword v12, v2, s[0:3], 0 offen offset:4
	buffer_load_dword v9, v4, s[0:3], 0 offen
	buffer_load_dword v13, v6, s[0:3], 0 offen
	buffer_load_dword v14, v6, s[0:3], 0 offen offset:4
	buffer_load_dword v7, v16, s[0:3], 0 offen
	buffer_load_dword v8, v16, s[0:3], 0 offen offset:4
	buffer_load_dword v10, v4, s[0:3], 0 offen offset:4
	s_mul_i32 s23, s25, 40
	v_mov_b32_e32 v2, v1
	s_add_i32 s21, s23, 0x1f40
	v_mov_b32_e32 v4, s23
	s_addk_i32 s23, 0x1f48
	v_mov_b32_e32 v6, s25
	ds_write_b32 v4, v1 offset:8032
	v_mov_b32_e32 v16, s23
	v_add_u32_e32 v17, 0x1800, v4
	s_mov_b64 s[18:19], 0
	ds_write_b8 v4, v1 offset:8036
	ds_write2_b64 v17, v[5:6], v[1:2] offset0:232 offset1:235
	s_waitcnt vmcnt(0)
	ds_write2_b64 v16, v[13:14], v[11:12] offset1:1
	v_mov_b32_e32 v14, v8
	v_mov_b32_e32 v13, v7
.LBB0_33:                               ;   Parent Loop BB0_8 Depth=1
                                        ; =>  This Inner Loop Header: Depth=2
	v_mov_b32_e32 v11, v13
	v_mov_b32_e32 v12, v14
	flat_load_dwordx2 v[13:14], v[13:14]
	s_waitcnt vmcnt(0) lgkmcnt(0)
	v_cmp_eq_u64_e32 vcc, 0, v[13:14]
	s_or_b64 s[18:19], vcc, s[18:19]
	s_andn2_b64 exec, exec, s[18:19]
	s_cbranch_execnz .LBB0_33
; %bb.34:                               ;   in Loop: Header=BB0_8 Depth=1
	s_or_b64 exec, exec, s[18:19]
	s_mov_b64 s[18:19], src_shared_base
	v_mov_b32_e32 v2, s19
	v_mov_b32_e32 v4, s9
	flat_store_dwordx2 v[11:12], v[9:10]
	buffer_store_dword v2, v4, s[0:3], 0 offen offset:4
	v_mov_b32_e32 v2, s21
	s_add_i32 s23, s25, 1
	buffer_store_dword v2, v4, s[0:3], 0 offen
	v_mov_b32_e32 v2, s20
	buffer_store_dword v8, v2, s[0:3], 0 offen offset:4
	buffer_store_dword v7, v2, s[0:3], 0 offen
	s_and_b64 vcc, exec, s[10:11]
	s_cbranch_vccz .LBB0_39
.LBB0_35:                               ;   in Loop: Header=BB0_8 Depth=1
	s_mov_b64 s[10:11], src_shared_base
	s_add_i32 s10, s7, -16
	v_mov_b32_e32 v2, s10
	s_add_i32 s9, s7, -8
	v_mov_b32_e32 v4, s9
	buffer_load_dword v9, v2, s[0:3], 0 offen
	buffer_load_dword v10, v2, s[0:3], 0 offen offset:4
	buffer_load_dword v7, v4, s[0:3], 0 offen
	buffer_load_dword v8, v4, s[0:3], 0 offen offset:4
	s_mul_i32 s20, s25, 40
	s_add_i32 s18, s20, 0x1f40
	v_mov_b32_e32 v4, s20
	s_addk_i32 s20, 0x1f48
	v_mov_b32_e32 v6, s25
	v_mov_b32_e32 v2, v1
	;; [unrolled: 1-line block ×3, first 2 shown]
	v_add_u32_e32 v12, 0x1800, v4
	ds_write_b32 v4, v1 offset:8032
	s_waitcnt vmcnt(0)
	ds_write2_b64 v11, v[9:10], v[1:2] offset1:1
	ds_write2_b64 v12, v[5:6], v[1:2] offset0:232 offset1:235
	ds_write_b8 v4, v1 offset:8036
	v_cmp_ne_u64_e32 vcc, 0, v[7:8]
	s_and_saveexec_b64 s[20:21], vcc
	s_cbranch_execz .LBB0_38
; %bb.36:                               ;   in Loop: Header=BB0_8 Depth=1
	s_mov_b32 s19, s11
	v_mov_b32_e32 v9, s18
	s_mov_b64 s[22:23], 0
	v_mov_b32_e32 v10, s19
.LBB0_37:                               ;   Parent Loop BB0_8 Depth=1
                                        ; =>  This Inner Loop Header: Depth=2
	flat_load_dwordx2 v[11:12], v[7:8]
	s_waitcnt vmcnt(0) lgkmcnt(0)
	v_cmp_eq_u64_e32 vcc, 0, v[11:12]
	flat_store_dwordx2 v[7:8], v[9:10]
	v_mov_b32_e32 v7, v11
	s_or_b64 s[22:23], vcc, s[22:23]
	v_mov_b32_e32 v8, v12
	s_andn2_b64 exec, exec, s[22:23]
	s_cbranch_execnz .LBB0_37
.LBB0_38:                               ;   in Loop: Header=BB0_8 Depth=1
	s_or_b64 exec, exec, s[20:21]
	v_mov_b32_e32 v2, v1
	v_mov_b32_e32 v4, s18
	ds_write_b64 v4, v[1:2] offset:16
	v_mov_b32_e32 v2, s11
	v_mov_b32_e32 v4, s10
	s_mov_b64 s[20:21], src_shared_base
	buffer_store_dword v2, v4, s[0:3], 0 offen offset:4
	v_mov_b32_e32 v2, s18
	s_add_i32 s19, s18, 16
	buffer_store_dword v2, v4, s[0:3], 0 offen
	v_mov_b32_e32 v2, s21
	v_mov_b32_e32 v4, s9
	s_add_i32 s23, s25, 1
	buffer_store_dword v2, v4, s[0:3], 0 offen offset:4
	v_mov_b32_e32 v2, s19
	s_mov_b32 s22, s7
	buffer_store_dword v2, v4, s[0:3], 0 offen
.LBB0_39:                               ;   in Loop: Header=BB0_8 Depth=1
	s_mov_b64 s[10:11], -1
	s_cbranch_execnz .LBB0_17
.LBB0_40:                               ;   in Loop: Header=BB0_8 Depth=1
	s_and_b32 s9, 0xffff, s26
	s_cmp_gt_i32 s9, 0
                                        ; implicit-def: $sgpr20
	s_cbranch_scc0 .LBB0_51
; %bb.41:                               ;   in Loop: Header=BB0_8 Depth=1
	s_mov_b64 s[10:11], -1
	s_cmp_gt_i32 s9, 1
	s_mul_i32 s9, s25, 40
                                        ; implicit-def: $sgpr20
	s_cbranch_scc0 .LBB0_45
; %bb.42:                               ;   in Loop: Header=BB0_8 Depth=1
	s_add_i32 s18, s7, -16
	v_mov_b32_e32 v2, s18
	s_add_i32 s19, s7, -8
	v_mov_b32_e32 v4, s19
	buffer_load_dword v9, v2, s[0:3], 0 offen
	buffer_load_dword v10, v2, s[0:3], 0 offen offset:4
	buffer_load_dword v7, v4, s[0:3], 0 offen
	buffer_load_dword v8, v4, s[0:3], 0 offen offset:4
	v_mov_b32_e32 v4, s9
	v_mov_b32_e32 v6, s25
	s_add_i32 s20, s9, 0x1f48
	v_mov_b32_e32 v2, v1
	v_add_u32_e32 v11, 0x1800, v4
	ds_write_b32 v4, v1 offset:8032
	ds_write_b8 v4, v1 offset:8036
	v_mov_b32_e32 v4, s20
	s_add_i32 s21, s9, 0x1f40
	s_mov_b64 s[10:11], 0
	ds_write2_b64 v11, v[5:6], v[1:2] offset0:232 offset1:235
	s_waitcnt vmcnt(0)
	ds_write2_b64 v4, v[9:10], v[1:2] offset1:1
	v_mov_b32_e32 v12, v8
	v_mov_b32_e32 v11, v7
.LBB0_43:                               ;   Parent Loop BB0_8 Depth=1
                                        ; =>  This Inner Loop Header: Depth=2
	v_mov_b32_e32 v9, v11
	v_mov_b32_e32 v10, v12
	flat_load_dwordx2 v[11:12], v[11:12]
	s_waitcnt vmcnt(0) lgkmcnt(0)
	v_cmp_eq_u64_e32 vcc, 0, v[11:12]
	s_or_b64 s[10:11], vcc, s[10:11]
	s_andn2_b64 exec, exec, s[10:11]
	s_cbranch_execnz .LBB0_43
; %bb.44:                               ;   in Loop: Header=BB0_8 Depth=1
	s_or_b64 exec, exec, s[10:11]
	s_mov_b64 s[10:11], src_shared_base
	s_add_i32 s10, s21, 16
	v_mov_b32_e32 v11, s10
	v_mov_b32_e32 v12, s11
	;; [unrolled: 1-line block ×4, first 2 shown]
	flat_store_dwordx2 v[9:10], v[11:12]
	buffer_store_dword v12, v2, s[0:3], 0 offen offset:4
	buffer_store_dword v4, v2, s[0:3], 0 offen
	v_mov_b32_e32 v2, s19
	s_add_i32 s20, s25, 1
	buffer_store_dword v8, v2, s[0:3], 0 offen offset:4
	buffer_store_dword v7, v2, s[0:3], 0 offen
	s_mov_b64 s[10:11], 0
.LBB0_45:                               ;   in Loop: Header=BB0_8 Depth=1
	s_and_b64 vcc, exec, s[10:11]
	s_cbranch_vccz .LBB0_50
; %bb.46:                               ;   in Loop: Header=BB0_8 Depth=1
	s_add_i32 s22, s7, -16
	v_mov_b32_e32 v2, s22
	s_add_i32 s23, s7, -8
	v_mov_b32_e32 v4, s23
	buffer_load_dword v7, v2, s[0:3], 0 offen
	buffer_load_dword v8, v2, s[0:3], 0 offen offset:4
	buffer_load_dword v9, v4, s[0:3], 0 offen
	buffer_load_dword v10, v4, s[0:3], 0 offen offset:4
	s_add_i32 s10, s9, 0x1f40
	v_mov_b32_e32 v4, s9
	s_addk_i32 s9, 0x1f48
	v_mov_b32_e32 v6, s25
	v_mov_b32_e32 v2, v1
	v_mov_b32_e32 v11, s9
	v_add_u32_e32 v12, 0x1800, v4
	ds_write_b32 v4, v1 offset:8032
	s_waitcnt vmcnt(0)
	ds_write2_b64 v11, v[7:8], v[1:2] offset1:1
	ds_write2_b64 v12, v[5:6], v[1:2] offset0:232 offset1:235
	ds_write_b8 v4, v1 offset:8036
	v_cmp_ne_u64_e32 vcc, 0, v[9:10]
	s_and_saveexec_b64 s[18:19], vcc
	s_cbranch_execz .LBB0_49
; %bb.47:                               ;   in Loop: Header=BB0_8 Depth=1
	s_mov_b64 s[20:21], src_shared_base
	s_mov_b32 s11, s21
	s_mov_b64 s[20:21], 0
.LBB0_48:                               ;   Parent Loop BB0_8 Depth=1
                                        ; =>  This Inner Loop Header: Depth=2
	flat_load_dwordx2 v[11:12], v[9:10]
	v_mov_b32_e32 v14, s11
	v_mov_b32_e32 v13, s10
	flat_store_dwordx2 v[9:10], v[13:14]
	s_waitcnt vmcnt(0) lgkmcnt(0)
	v_cmp_eq_u64_e32 vcc, 0, v[11:12]
	v_mov_b32_e32 v9, v11
	s_or_b64 s[20:21], vcc, s[20:21]
	v_mov_b32_e32 v10, v12
	s_andn2_b64 exec, exec, s[20:21]
	s_cbranch_execnz .LBB0_48
.LBB0_49:                               ;   in Loop: Header=BB0_8 Depth=1
	s_or_b64 exec, exec, s[18:19]
	v_mov_b32_e32 v2, v1
	v_mov_b32_e32 v4, s10
	s_mov_b64 s[18:19], src_shared_base
	ds_write_b64 v4, v[1:2] offset:16
	v_mov_b32_e32 v2, s22
	s_add_i32 s9, s10, 16
	buffer_store_dword v8, v2, s[0:3], 0 offen offset:4
	buffer_store_dword v7, v2, s[0:3], 0 offen
	v_mov_b32_e32 v2, s19
	v_mov_b32_e32 v4, s23
	s_add_i32 s20, s25, 1
	buffer_store_dword v2, v4, s[0:3], 0 offen offset:4
	v_mov_b32_e32 v2, s9
	buffer_store_dword v2, v4, s[0:3], 0 offen
.LBB0_50:                               ;   in Loop: Header=BB0_8 Depth=1
	s_mov_b64 s[10:11], -1
.LBB0_51:                               ;   in Loop: Header=BB0_8 Depth=1
	s_mov_b32 s22, s7
	s_mov_b32 s25, s20
	s_mov_b64 s[18:19], -1
	s_and_b64 vcc, exec, s[10:11]
	s_cbranch_vccz .LBB0_7
.LBB0_52:                               ;   in Loop: Header=BB0_8 Depth=1
	s_add_i32 s24, s24, 1
	s_mov_b64 s[18:19], 0
	s_branch .LBB0_7
.LBB0_53:
	s_add_i32 s8, s7, -16
	v_mov_b32_e32 v1, 0
	v_mov_b32_e32 v2, 0
	s_cmp_lg_u32 s8, 16
	s_cbranch_scc1 .LBB0_150
; %bb.54:
	s_add_i32 s7, s7, -8
	v_mov_b32_e32 v1, s7
	buffer_load_dword v3, v1, s[0:3], 0 offen
	buffer_load_dword v4, v1, s[0:3], 0 offen offset:4
                                        ; kill: killed $vgpr1
	s_nop 0
	buffer_load_dword v1, off, s[0:3], 0 offset:16
	buffer_load_dword v2, off, s[0:3], 0 offset:20
	s_mov_b64 s[10:11], 0
	s_waitcnt vmcnt(0)
	v_cmp_ne_u64_e32 vcc, 0, v[3:4]
	s_and_saveexec_b64 s[8:9], vcc
	s_cbranch_execz .LBB0_57
; %bb.55:
	v_mov_b32_e32 v5, s14
	v_mov_b32_e32 v6, s15
.LBB0_56:                               ; =>This Inner Loop Header: Depth=1
	flat_load_dwordx2 v[7:8], v[3:4]
	s_waitcnt vmcnt(0) lgkmcnt(0)
	v_cmp_eq_u64_e32 vcc, 0, v[7:8]
	flat_store_dwordx2 v[3:4], v[5:6]
	v_mov_b32_e32 v3, v7
	s_or_b64 s[10:11], vcc, s[10:11]
	v_mov_b32_e32 v4, v8
	s_andn2_b64 exec, exec, s[10:11]
	s_cbranch_execnz .LBB0_56
.LBB0_57:
	s_or_b64 exec, exec, s[8:9]
	s_branch .LBB0_150
.LBB0_58:
	s_cbranch_execz .LBB0_5
.LBB0_59:
	v_mov_b32_e32 v4, 0
	s_mov_b64 s[18:19], 0
	v_mov_b32_e32 v5, 27
	v_mov_b32_e32 v6, 0x1b1b1b1b
	;; [unrolled: 1-line block ×4, first 2 shown]
	s_mov_b32 s7, 16
	s_movk_i32 s33, 0x320
	v_mov_b32_e32 v1, 0
	v_mov_b32_e32 v2, 0
	;; [unrolled: 1-line block ×4, first 2 shown]
                                        ; implicit-def: $sgpr20_sgpr21
	s_branch .LBB0_61
.LBB0_60:                               ;   in Loop: Header=BB0_61 Depth=1
	s_or_b64 exec, exec, s[26:27]
	s_and_b64 s[8:9], exec, s[8:9]
	s_or_b64 s[18:19], s[8:9], s[18:19]
	s_andn2_b64 s[8:9], s[20:21], exec
	s_and_b64 s[20:21], s[22:23], exec
	s_or_b64 s[20:21], s[8:9], s[20:21]
	s_andn2_b64 exec, exec, s[18:19]
	s_cbranch_execz .LBB0_124
.LBB0_61:                               ; =>This Loop Header: Depth=1
                                        ;     Child Loop BB0_106 Depth 2
                                        ;     Child Loop BB0_110 Depth 2
	;; [unrolled: 1-line block ×6, first 2 shown]
	s_and_b32 s35, s34, 0xff
	s_mov_b64 s[22:23], -1
	s_mov_b64 s[24:25], 0
	s_cmp_lt_i32 s35, 4
	s_mov_b64 s[8:9], -1
                                        ; implicit-def: $vgpr11
                                        ; implicit-def: $vgpr12
                                        ; implicit-def: $vgpr13
                                        ; implicit-def: $vgpr10
	s_cbranch_scc1 .LBB0_116
; %bb.62:                               ;   in Loop: Header=BB0_61 Depth=1
	s_and_b32 s8, 0xffff, s35
	s_cmp_gt_i32 s8, 4
	s_cbranch_scc0 .LBB0_69
; %bb.63:                               ;   in Loop: Header=BB0_61 Depth=1
	s_cmp_gt_i32 s8, 5
	s_cbranch_scc0 .LBB0_70
; %bb.64:                               ;   in Loop: Header=BB0_61 Depth=1
	s_cmp_lg_u32 s8, 6
	s_cbranch_scc0 .LBB0_71
; %bb.65:                               ;   in Loop: Header=BB0_61 Depth=1
	v_cmp_lt_i32_e32 vcc, 1, v3
	v_mov_b32_e32 v12, v1
	v_mov_b32_e32 v11, v3
	s_and_saveexec_b64 s[8:9], vcc
; %bb.66:                               ;   in Loop: Header=BB0_61 Depth=1
	v_add_u32_e32 v11, -1, v3
	v_add_u32_e32 v12, 1, v1
	ds_write_b8 v1, v5
; %bb.67:                               ;   in Loop: Header=BB0_61 Depth=1
	s_or_b64 exec, exec, s[8:9]
	s_waitcnt vmcnt(0)
	v_mov_b32_e32 v13, s34
	v_add_u32_e32 v10, 1, v12
	ds_write_b8 v12, v13
	v_add_u32_e32 v12, 1, v11
	s_mov_b64 s[24:25], -1
.LBB0_68:                               ;   in Loop: Header=BB0_61 Depth=1
	v_mov_b32_e32 v11, v9
	s_waitcnt vmcnt(0)
	v_mov_b32_e32 v13, v2
	s_branch .LBB0_95
.LBB0_69:                               ;   in Loop: Header=BB0_61 Depth=1
                                        ; implicit-def: $vgpr11
                                        ; implicit-def: $vgpr12
                                        ; implicit-def: $vgpr13
                                        ; implicit-def: $vgpr10
	s_cbranch_execnz .LBB0_102
	s_branch .LBB0_115
.LBB0_70:                               ;   in Loop: Header=BB0_61 Depth=1
                                        ; implicit-def: $vgpr11
                                        ; implicit-def: $vgpr12
                                        ; implicit-def: $vgpr13
                                        ; implicit-def: $vgpr10
	s_cbranch_execnz .LBB0_96
	s_branch .LBB0_101
.LBB0_71:                               ;   in Loop: Header=BB0_61 Depth=1
                                        ; implicit-def: $vgpr12
                                        ; implicit-def: $vgpr10
	s_cbranch_execz .LBB0_68
; %bb.72:                               ;   in Loop: Header=BB0_61 Depth=1
	v_cmp_ne_u32_e32 vcc, 0, v9
	v_cmp_ne_u32_e64 s[8:9], 0, v3
	s_and_b64 s[26:27], vcc, s[8:9]
	v_mov_b32_e32 v11, v9
	v_mov_b32_e32 v12, v3
	s_waitcnt vmcnt(0)
	v_mov_b32_e32 v13, v2
	v_mov_b32_e32 v10, v1
	s_and_saveexec_b64 s[8:9], s[26:27]
	s_cbranch_execz .LBB0_94
; %bb.73:                               ;   in Loop: Header=BB0_61 Depth=1
	v_cmp_lt_i32_e32 vcc, 1, v3
	v_mov_b32_e32 v10, v1
	s_and_saveexec_b64 s[26:27], vcc
	s_cbranch_execz .LBB0_83
; %bb.74:                               ;   in Loop: Header=BB0_61 Depth=1
	v_cmp_lt_u32_e32 vcc, 4, v3
	s_mov_b64 s[30:31], -1
	v_mov_b32_e32 v10, v1
	v_mov_b32_e32 v11, v3
	s_and_saveexec_b64 s[28:29], vcc
	s_cbranch_execz .LBB0_78
; %bb.75:                               ;   in Loop: Header=BB0_61 Depth=1
	v_add_u32_e32 v12, -1, v3
	v_and_b32_e32 v13, -4, v12
	s_mov_b64 s[30:31], 0
	v_mov_b32_e32 v10, v1
	v_mov_b32_e32 v11, v13
.LBB0_76:                               ;   Parent Loop BB0_61 Depth=1
                                        ; =>  This Inner Loop Header: Depth=2
	v_add_u32_e32 v11, -4, v11
	v_cmp_eq_u32_e32 vcc, 0, v11
	ds_write_b32 v10, v6
	s_or_b64 s[30:31], vcc, s[30:31]
	v_add_u32_e32 v10, 4, v10
	s_andn2_b64 exec, exec, s[30:31]
	s_cbranch_execnz .LBB0_76
; %bb.77:                               ;   in Loop: Header=BB0_61 Depth=1
	s_or_b64 exec, exec, s[30:31]
	v_cmp_ne_u32_e32 vcc, v12, v13
	v_sub_u32_e32 v11, v3, v13
	v_add_u32_e32 v10, v1, v13
	s_orn2_b64 s[30:31], vcc, exec
.LBB0_78:                               ;   in Loop: Header=BB0_61 Depth=1
	s_or_b64 exec, exec, s[28:29]
	s_and_saveexec_b64 s[28:29], s[30:31]
	s_cbranch_execz .LBB0_82
; %bb.79:                               ;   in Loop: Header=BB0_61 Depth=1
	v_add_u32_e32 v11, 1, v11
	s_mov_b64 s[30:31], 0
.LBB0_80:                               ;   Parent Loop BB0_61 Depth=1
                                        ; =>  This Inner Loop Header: Depth=2
	v_add_u32_e32 v11, -1, v11
	v_mov_b32_e32 v12, v10
	v_cmp_gt_u32_e32 vcc, 3, v11
	v_add_u32_e32 v10, 1, v12
	s_or_b64 s[30:31], vcc, s[30:31]
	ds_write_b8 v12, v5
	s_andn2_b64 exec, exec, s[30:31]
	s_cbranch_execnz .LBB0_80
; %bb.81:                               ;   in Loop: Header=BB0_61 Depth=1
	s_or_b64 exec, exec, s[30:31]
.LBB0_82:                               ;   in Loop: Header=BB0_61 Depth=1
	s_or_b64 exec, exec, s[28:29]
.LBB0_83:                               ;   in Loop: Header=BB0_61 Depth=1
	s_or_b64 exec, exec, s[26:27]
	v_cmp_lt_i32_e32 vcc, 0, v2
	s_and_saveexec_b64 s[26:27], vcc
	s_cbranch_execz .LBB0_93
; %bb.84:                               ;   in Loop: Header=BB0_61 Depth=1
	v_cmp_lt_u32_e32 vcc, 3, v2
	s_mov_b64 s[30:31], -1
	v_mov_b32_e32 v11, v2
	s_and_saveexec_b64 s[28:29], vcc
	s_cbranch_execz .LBB0_88
; %bb.85:                               ;   in Loop: Header=BB0_61 Depth=1
	v_and_b32_e32 v12, 0x7ffffffc, v2
	s_mov_b64 s[30:31], 0
	v_mov_b32_e32 v11, v10
	v_mov_b32_e32 v13, v12
.LBB0_86:                               ;   Parent Loop BB0_61 Depth=1
                                        ; =>  This Inner Loop Header: Depth=2
	v_add_u32_e32 v13, -4, v13
	v_cmp_eq_u32_e32 vcc, 0, v13
	ds_write_b32 v11, v7
	s_or_b64 s[30:31], vcc, s[30:31]
	v_add_u32_e32 v11, 4, v11
	s_andn2_b64 exec, exec, s[30:31]
	s_cbranch_execnz .LBB0_86
; %bb.87:                               ;   in Loop: Header=BB0_61 Depth=1
	s_or_b64 exec, exec, s[30:31]
	v_cmp_ne_u32_e32 vcc, v2, v12
	v_and_b32_e32 v11, 3, v2
	v_add_u32_e32 v10, v10, v12
	s_orn2_b64 s[30:31], vcc, exec
.LBB0_88:                               ;   in Loop: Header=BB0_61 Depth=1
	s_or_b64 exec, exec, s[28:29]
	s_and_saveexec_b64 s[28:29], s[30:31]
	s_cbranch_execz .LBB0_92
; %bb.89:                               ;   in Loop: Header=BB0_61 Depth=1
	v_add_u32_e32 v11, 1, v11
	s_mov_b64 s[30:31], 0
.LBB0_90:                               ;   Parent Loop BB0_61 Depth=1
                                        ; =>  This Inner Loop Header: Depth=2
	v_add_u32_e32 v11, -1, v11
	v_mov_b32_e32 v12, v10
	v_cmp_gt_u32_e32 vcc, 2, v11
	v_add_u32_e32 v10, 1, v12
	s_or_b64 s[30:31], vcc, s[30:31]
	ds_write_b8 v12, v8
	s_andn2_b64 exec, exec, s[30:31]
	s_cbranch_execnz .LBB0_90
; %bb.91:                               ;   in Loop: Header=BB0_61 Depth=1
	s_or_b64 exec, exec, s[30:31]
.LBB0_92:                               ;   in Loop: Header=BB0_61 Depth=1
	s_or_b64 exec, exec, s[28:29]
.LBB0_93:                               ;   in Loop: Header=BB0_61 Depth=1
	s_or_b64 exec, exec, s[26:27]
	v_add_u32_e32 v11, -8, v9
	v_add3_u32 v12, s7, v9, -4
	buffer_load_dword v12, v12, s[0:3], 0 offen
	v_add_u32_e32 v13, 16, v11
	buffer_load_dword v13, v13, s[0:3], 0 offen
	s_or_b64 s[24:25], s[24:25], exec
	s_waitcnt vmcnt(1)
	v_add_u32_e32 v12, 1, v12
.LBB0_94:                               ;   in Loop: Header=BB0_61 Depth=1
	s_or_b64 exec, exec, s[8:9]
.LBB0_95:                               ;   in Loop: Header=BB0_61 Depth=1
	s_branch .LBB0_101
.LBB0_96:                               ;   in Loop: Header=BB0_61 Depth=1
	v_cmp_lt_i32_e32 vcc, 1, v3
	v_mov_b32_e32 v14, v1
	v_mov_b32_e32 v15, v3
	s_and_saveexec_b64 s[8:9], vcc
; %bb.97:                               ;   in Loop: Header=BB0_61 Depth=1
	v_add_u32_e32 v15, -1, v3
	v_add_u32_e32 v14, 1, v1
	ds_write_b8 v1, v5
; %bb.98:                               ;   in Loop: Header=BB0_61 Depth=1
	s_or_b64 exec, exec, s[8:9]
	v_cmp_gt_i32_e32 vcc, s33, v9
	v_mov_b32_e32 v11, v9
	v_mov_b32_e32 v12, v3
	s_waitcnt vmcnt(0)
	v_mov_b32_e32 v13, v2
	v_mov_b32_e32 v10, v1
	s_and_saveexec_b64 s[8:9], vcc
	s_cbranch_execz .LBB0_100
; %bb.99:                               ;   in Loop: Header=BB0_61 Depth=1
	v_add_u32_e32 v10, 16, v9
	buffer_store_dword v2, v10, s[0:3], 0 offen
	buffer_store_dword v15, v10, s[0:3], 0 offen offset:4
	v_add_u32_e32 v11, 8, v9
	v_mov_b32_e32 v12, 0
	s_or_b64 s[24:25], s[24:25], exec
	v_mov_b32_e32 v13, 0
	v_mov_b32_e32 v10, v14
.LBB0_100:                              ;   in Loop: Header=BB0_61 Depth=1
	s_or_b64 exec, exec, s[8:9]
.LBB0_101:                              ;   in Loop: Header=BB0_61 Depth=1
	s_branch .LBB0_115
.LBB0_102:                              ;   in Loop: Header=BB0_61 Depth=1
	v_cmp_ne_u32_e32 vcc, 0, v3
	v_mov_b32_e32 v12, v3
	s_waitcnt vmcnt(0)
	v_mov_b32_e32 v13, v2
	v_mov_b32_e32 v10, v1
	s_and_saveexec_b64 s[8:9], vcc
	s_cbranch_execz .LBB0_114
; %bb.103:                              ;   in Loop: Header=BB0_61 Depth=1
	v_add_u32_e32 v12, -1, v3
	v_cmp_lt_i32_e32 vcc, 1, v3
	v_mov_b32_e32 v10, v1
	s_and_saveexec_b64 s[26:27], vcc
	s_cbranch_execz .LBB0_113
; %bb.104:                              ;   in Loop: Header=BB0_61 Depth=1
	v_cmp_lt_u32_e32 vcc, 4, v3
	s_mov_b64 s[30:31], -1
	v_mov_b32_e32 v10, v1
	s_and_saveexec_b64 s[28:29], vcc
	s_cbranch_execz .LBB0_108
; %bb.105:                              ;   in Loop: Header=BB0_61 Depth=1
	v_and_b32_e32 v11, -4, v12
	s_mov_b64 s[30:31], 0
	v_mov_b32_e32 v10, v1
	v_mov_b32_e32 v13, v11
.LBB0_106:                              ;   Parent Loop BB0_61 Depth=1
                                        ; =>  This Inner Loop Header: Depth=2
	v_add_u32_e32 v13, -4, v13
	v_cmp_eq_u32_e32 vcc, 0, v13
	ds_write_b32 v10, v6
	s_or_b64 s[30:31], vcc, s[30:31]
	v_add_u32_e32 v10, 4, v10
	s_andn2_b64 exec, exec, s[30:31]
	s_cbranch_execnz .LBB0_106
; %bb.107:                              ;   in Loop: Header=BB0_61 Depth=1
	s_or_b64 exec, exec, s[30:31]
	v_and_b32_e32 v13, 3, v12
	v_cmp_ne_u32_e32 vcc, v12, v11
	v_add_u32_e32 v10, v1, v11
	s_orn2_b64 s[30:31], vcc, exec
	v_mov_b32_e32 v12, v13
.LBB0_108:                              ;   in Loop: Header=BB0_61 Depth=1
	s_or_b64 exec, exec, s[28:29]
	s_and_saveexec_b64 s[28:29], s[30:31]
	s_cbranch_execz .LBB0_112
; %bb.109:                              ;   in Loop: Header=BB0_61 Depth=1
	v_add_u32_e32 v11, 1, v12
	s_mov_b64 s[30:31], 0
.LBB0_110:                              ;   Parent Loop BB0_61 Depth=1
                                        ; =>  This Inner Loop Header: Depth=2
	v_add_u32_e32 v11, -1, v11
	v_mov_b32_e32 v12, v10
	v_cmp_gt_u32_e32 vcc, 2, v11
	v_add_u32_e32 v10, 1, v12
	s_or_b64 s[30:31], vcc, s[30:31]
	ds_write_b8 v12, v5
	s_andn2_b64 exec, exec, s[30:31]
	s_cbranch_execnz .LBB0_110
; %bb.111:                              ;   in Loop: Header=BB0_61 Depth=1
	s_or_b64 exec, exec, s[30:31]
.LBB0_112:                              ;   in Loop: Header=BB0_61 Depth=1
	s_or_b64 exec, exec, s[28:29]
	v_mov_b32_e32 v12, 0
.LBB0_113:                              ;   in Loop: Header=BB0_61 Depth=1
	s_or_b64 exec, exec, s[26:27]
	v_add_u32_e32 v13, 1, v2
	s_or_b64 s[24:25], s[24:25], exec
.LBB0_114:                              ;   in Loop: Header=BB0_61 Depth=1
	s_or_b64 exec, exec, s[8:9]
	v_mov_b32_e32 v11, v9
.LBB0_115:                              ;   in Loop: Header=BB0_61 Depth=1
	s_mov_b64 s[8:9], 0
.LBB0_116:                              ;   in Loop: Header=BB0_61 Depth=1
	s_and_b64 vcc, exec, s[8:9]
	s_cbranch_vccz .LBB0_122
; %bb.117:                              ;   in Loop: Header=BB0_61 Depth=1
	s_and_b32 s8, 0xffff, s35
	s_cmp_gt_i32 s8, 0
	s_mov_b64 s[22:23], 0
	s_cbranch_scc0 .LBB0_121
; %bb.118:                              ;   in Loop: Header=BB0_61 Depth=1
	v_cmp_ne_u32_e32 vcc, 0, v3
	s_and_saveexec_b64 s[8:9], vcc
; %bb.119:                              ;   in Loop: Header=BB0_61 Depth=1
	v_add_u32_e32 v10, 1, v1
	v_mov_b32_e32 v11, s34
	ds_write_b8 v1, v11
	s_or_b64 s[24:25], s[24:25], exec
	v_mov_b32_e32 v1, v10
; %bb.120:                              ;   in Loop: Header=BB0_61 Depth=1
	s_or_b64 exec, exec, s[8:9]
	s_mov_b64 s[22:23], -1
.LBB0_121:                              ;   in Loop: Header=BB0_61 Depth=1
	v_mov_b32_e32 v11, v9
	s_mov_b64 s[8:9], -1
                                        ; implicit-def: $sgpr34
	s_and_saveexec_b64 s[26:27], s[24:25]
	s_cbranch_execz .LBB0_60
	s_branch .LBB0_123
.LBB0_122:                              ;   in Loop: Header=BB0_61 Depth=1
	v_mov_b32_e32 v9, v11
	v_mov_b32_e32 v3, v12
	s_waitcnt vmcnt(0)
	v_mov_b32_e32 v2, v13
	v_mov_b32_e32 v1, v10
	s_mov_b64 s[8:9], -1
                                        ; implicit-def: $sgpr34
	s_and_saveexec_b64 s[26:27], s[24:25]
	s_cbranch_execz .LBB0_60
.LBB0_123:                              ;   in Loop: Header=BB0_61 Depth=1
	global_load_ubyte v10, v4, s[10:11] offset:1
	s_add_u32 s10, s10, 1
	v_mov_b32_e32 v9, v11
	s_addc_u32 s11, s11, 0
	s_xor_b64 s[8:9], exec, -1
	s_waitcnt vmcnt(0)
	v_readfirstlane_b32 s34, v10
	s_branch .LBB0_60
.LBB0_124:
	s_or_b64 exec, exec, s[18:19]
	s_xor_b64 s[8:9], s[20:21], -1
	s_and_saveexec_b64 s[10:11], s[8:9]
	s_xor_b64 s[8:9], exec, s[10:11]
	s_cbranch_execz .LBB0_148
; %bb.125:
	v_cmp_eq_u32_e32 vcc, 0, v11
	s_and_saveexec_b64 s[10:11], vcc
	s_cbranch_execz .LBB0_147
; %bb.126:
	v_cmp_lt_i32_e32 vcc, 1, v3
	s_and_saveexec_b64 s[18:19], vcc
	s_cbranch_execz .LBB0_136
; %bb.127:
	v_cmp_lt_u32_e32 vcc, 4, v3
	s_mov_b64 s[22:23], -1
	s_and_saveexec_b64 s[20:21], vcc
	s_cbranch_execz .LBB0_131
; %bb.128:
	v_add_u32_e32 v4, -1, v3
	v_and_b32_e32 v5, -4, v4
	s_mov_b64 s[22:23], 0
	v_mov_b32_e32 v6, 0x1b1b1b1b
	v_mov_b32_e32 v7, v1
	;; [unrolled: 1-line block ×3, first 2 shown]
.LBB0_129:                              ; =>This Inner Loop Header: Depth=1
	v_add_u32_e32 v8, -4, v8
	v_cmp_eq_u32_e32 vcc, 0, v8
	ds_write_b32 v7, v6
	s_or_b64 s[22:23], vcc, s[22:23]
	v_add_u32_e32 v7, 4, v7
	s_andn2_b64 exec, exec, s[22:23]
	s_cbranch_execnz .LBB0_129
; %bb.130:
	s_or_b64 exec, exec, s[22:23]
	v_cmp_ne_u32_e32 vcc, v4, v5
	v_sub_u32_e32 v3, v3, v5
	v_add_u32_e32 v1, v1, v5
	s_orn2_b64 s[22:23], vcc, exec
.LBB0_131:
	s_or_b64 exec, exec, s[20:21]
	s_and_saveexec_b64 s[20:21], s[22:23]
	s_cbranch_execz .LBB0_135
; %bb.132:
	v_add_u32_e32 v3, 1, v3
	s_mov_b64 s[22:23], 0
	v_mov_b32_e32 v4, 27
.LBB0_133:                              ; =>This Inner Loop Header: Depth=1
	v_add_u32_e32 v3, -1, v3
	v_mov_b32_e32 v5, v1
	v_cmp_gt_u32_e32 vcc, 3, v3
	v_add_u32_e32 v1, 1, v5
	s_or_b64 s[22:23], vcc, s[22:23]
	ds_write_b8 v5, v4
	s_andn2_b64 exec, exec, s[22:23]
	s_cbranch_execnz .LBB0_133
; %bb.134:
	s_or_b64 exec, exec, s[22:23]
.LBB0_135:
	s_or_b64 exec, exec, s[20:21]
.LBB0_136:
	s_or_b64 exec, exec, s[18:19]
	v_cmp_lt_i32_e32 vcc, 0, v2
	s_and_saveexec_b64 s[18:19], vcc
	s_cbranch_execz .LBB0_146
; %bb.137:
	v_cmp_lt_u32_e32 vcc, 3, v2
	s_mov_b64 s[22:23], -1
	s_and_saveexec_b64 s[20:21], vcc
	s_cbranch_execz .LBB0_141
; %bb.138:
	v_and_b32_e32 v3, 0x7ffffffc, v2
	s_mov_b64 s[22:23], 0
	v_mov_b32_e32 v4, 0x4040404
	v_mov_b32_e32 v5, v1
	;; [unrolled: 1-line block ×3, first 2 shown]
.LBB0_139:                              ; =>This Inner Loop Header: Depth=1
	v_add_u32_e32 v6, -4, v6
	v_cmp_eq_u32_e32 vcc, 0, v6
	ds_write_b32 v5, v4
	s_or_b64 s[22:23], vcc, s[22:23]
	v_add_u32_e32 v5, 4, v5
	s_andn2_b64 exec, exec, s[22:23]
	s_cbranch_execnz .LBB0_139
; %bb.140:
	s_or_b64 exec, exec, s[22:23]
	v_and_b32_e32 v4, 3, v2
	v_cmp_ne_u32_e32 vcc, v2, v3
	v_add_u32_e32 v1, v1, v3
	s_orn2_b64 s[22:23], vcc, exec
	v_mov_b32_e32 v2, v4
.LBB0_141:
	s_or_b64 exec, exec, s[20:21]
	s_and_saveexec_b64 s[20:21], s[22:23]
	s_cbranch_execz .LBB0_145
; %bb.142:
	v_add_u32_e32 v2, 1, v2
	s_mov_b64 s[22:23], 0
	v_mov_b32_e32 v3, 4
.LBB0_143:                              ; =>This Inner Loop Header: Depth=1
	v_add_u32_e32 v2, -1, v2
	v_mov_b32_e32 v4, v1
	v_cmp_gt_u32_e32 vcc, 2, v2
	v_add_u32_e32 v1, 1, v4
	s_or_b64 s[22:23], vcc, s[22:23]
	ds_write_b8 v4, v3
	s_andn2_b64 exec, exec, s[22:23]
	s_cbranch_execnz .LBB0_143
; %bb.144:
	s_or_b64 exec, exec, s[22:23]
.LBB0_145:
	s_or_b64 exec, exec, s[20:21]
.LBB0_146:
	s_or_b64 exec, exec, s[18:19]
	v_mov_b32_e32 v2, 0
	ds_write_b8 v1, v2
.LBB0_147:
	s_or_b64 exec, exec, s[10:11]
.LBB0_148:
	s_or_b64 exec, exec, s[8:9]
	s_branch .LBB0_6
; %bb.149:
	v_mov_b32_e32 v1, 0
	v_mov_b32_e32 v2, 0
.LBB0_150:
	v_mov_b32_e32 v3, 0
	ds_write_b64 v3, v[1:2] offset:12000
.LBB0_151:
	s_or_b64 exec, exec, s[16:17]
	s_waitcnt vmcnt(0) lgkmcnt(0)
	s_barrier
	s_load_dword s7, s[4:5], 0x44
	s_load_dword s28, s[4:5], 0x10
	s_add_u32 s14, s4, 56
	s_addc_u32 s15, s5, 0
	s_waitcnt lgkmcnt(0)
	s_and_b32 s7, s7, 0xffff
	s_mul_i32 s6, s6, s7
	v_add_u32_e32 v0, s6, v0
	v_cmp_gt_i32_e32 vcc, s28, v0
	s_and_saveexec_b64 s[8:9], vcc
	s_cbranch_execz .LBB0_185
; %bb.152:
	s_load_dword s29, s[14:15], 0x0
	s_load_dwordx4 s[8:11], s[4:5], 0x0
	v_mov_b32_e32 v8, 0
	ds_read_b64 v[2:3], v8 offset:12000
	s_mov_b64 s[4:5], 0
	s_waitcnt lgkmcnt(0)
	s_mul_i32 s29, s29, s7
	v_mov_b32_e32 v9, s11
	v_mov_b32_e32 v10, 16
	s_movk_i32 s11, 0x101
	v_mov_b32_e32 v11, s9
	s_movk_i32 s30, 0x102
	s_movk_i32 s31, 0x100
	v_mov_b32_e32 v12, 0x3e90
	s_branch .LBB0_155
.LBB0_153:                              ;   in Loop: Header=BB0_155 Depth=1
	s_or_b64 exec, exec, s[14:15]
.LBB0_154:                              ;   in Loop: Header=BB0_155 Depth=1
	s_or_b64 exec, exec, s[6:7]
	v_mov_b32_e32 v6, s13
	v_add_co_u32_e32 v5, vcc, s12, v0
	v_addc_co_u32_e32 v6, vcc, v6, v1, vcc
	v_add_u32_e32 v0, s29, v0
	v_cmp_le_i32_e32 vcc, s28, v0
	s_or_b64 s[4:5], vcc, s[4:5]
	global_store_byte v[5:6], v4, off
	s_andn2_b64 exec, exec, s[4:5]
	s_cbranch_execz .LBB0_185
.LBB0_155:                              ; =>This Loop Header: Depth=1
                                        ;     Child Loop BB0_158 Depth 2
                                        ;     Child Loop BB0_166 Depth 2
                                        ;       Child Loop BB0_170 Depth 3
                                        ;         Child Loop BB0_174 Depth 4
                                        ;     Child Loop BB0_183 Depth 2
	v_ashrrev_i32_e32 v1, 31, v0
	v_lshlrev_b64 v[4:5], 2, v[0:1]
	v_mov_b32_e32 v15, 1
	v_add_co_u32_e32 v4, vcc, s10, v4
	v_addc_co_u32_e32 v5, vcc, v9, v5, vcc
	global_load_dword v7, v[4:5], off
	s_mov_b64 s[6:7], 0
	v_mov_b32_e32 v14, 0
	v_mov_b32_e32 v6, 0
	buffer_store_dword v3, off, s[0:3], 0 offset:20
	buffer_store_dword v2, off, s[0:3], 0 offset:16
	s_branch .LBB0_158
.LBB0_156:                              ;   in Loop: Header=BB0_158 Depth=2
	s_or_b64 exec, exec, s[16:17]
	v_mov_b32_e32 v14, v17
.LBB0_157:                              ;   in Loop: Header=BB0_158 Depth=2
	s_or_b64 exec, exec, s[14:15]
	v_cmp_eq_u32_e32 vcc, 0, v13
	s_or_b64 s[6:7], vcc, s[6:7]
	v_mov_b32_e32 v15, v13
	s_andn2_b64 exec, exec, s[6:7]
	s_cbranch_execz .LBB0_163
.LBB0_158:                              ;   Parent Loop BB0_155 Depth=1
                                        ; =>  This Inner Loop Header: Depth=2
	v_add_u32_e32 v13, -1, v15
	v_lshl_add_u32 v16, v13, 3, v10
	buffer_load_dword v4, v16, s[0:3], 0 offen
	buffer_load_dword v5, v16, s[0:3], 0 offen offset:4
	s_waitcnt vmcnt(0)
	v_cmp_ne_u64_e32 vcc, 0, v[4:5]
	s_and_saveexec_b64 s[14:15], vcc
	s_cbranch_execz .LBB0_157
; %bb.159:                              ;   in Loop: Header=BB0_158 Depth=2
	flat_load_dword v17, v[4:5]
	s_waitcnt vmcnt(0) lgkmcnt(0)
	v_cmp_ne_u32_e32 vcc, s11, v17
	s_and_saveexec_b64 s[16:17], vcc
	s_xor_b64 s[16:17], exec, s[16:17]
	s_cbranch_execz .LBB0_161
; %bb.160:                              ;   in Loop: Header=BB0_158 Depth=2
	v_add_u32_e32 v14, 1, v6
	v_lshl_add_u32 v6, v6, 3, v12
	buffer_store_dword v5, v6, s[0:3], 0 offen offset:4
	buffer_store_dword v4, v6, s[0:3], 0 offen
	v_mov_b32_e32 v6, v14
                                        ; implicit-def: $vgpr4_vgpr5
                                        ; implicit-def: $vgpr16
                                        ; implicit-def: $vgpr15
                                        ; implicit-def: $vgpr14
.LBB0_161:                              ;   in Loop: Header=BB0_158 Depth=2
	s_or_saveexec_b64 s[16:17], s[16:17]
	v_mov_b32_e32 v17, v6
	s_xor_b64 exec, exec, s[16:17]
	s_cbranch_execz .LBB0_156
; %bb.162:                              ;   in Loop: Header=BB0_158 Depth=2
	flat_load_dwordx4 v[17:20], v[4:5] offset:8
	v_add_u32_e32 v13, 1, v15
	v_lshl_add_u32 v4, v15, 3, v10
	s_waitcnt vmcnt(0) lgkmcnt(0)
	buffer_store_dword v18, v16, s[0:3], 0 offen offset:4
	buffer_store_dword v17, v16, s[0:3], 0 offen
	buffer_store_dword v20, v4, s[0:3], 0 offen offset:4
	buffer_store_dword v19, v4, s[0:3], 0 offen
	v_mov_b32_e32 v17, v14
	s_branch .LBB0_156
.LBB0_163:                              ;   in Loop: Header=BB0_155 Depth=1
	s_or_b64 exec, exec, s[6:7]
	global_load_ubyte v13, v7, s[8:9]
	v_mov_b32_e32 v4, 0x3e90
	buffer_store_dword v14, v4, s[0:3], 0 offen offset:800
	s_movk_i32 s33, 0x3e90
	v_mov_b32_e32 v14, 0x3e90
	s_waitcnt vmcnt(1)
	v_cmp_ne_u16_e32 vcc, 0, v13
	s_and_saveexec_b64 s[6:7], vcc
	s_cbranch_execz .LBB0_180
; %bb.164:                              ;   in Loop: Header=BB0_155 Depth=1
	v_add_co_u32_e32 v4, vcc, s8, v7
	v_addc_co_u32_e32 v5, vcc, 0, v11, vcc
	s_movk_i32 s16, 0x41b8
	s_mov_b64 s[14:15], 0
	s_branch .LBB0_166
.LBB0_165:                              ;   in Loop: Header=BB0_166 Depth=2
	s_or_b64 exec, exec, s[16:17]
	global_load_ubyte v13, v[4:5], off offset:1
	v_add_co_u32_e32 v4, vcc, 1, v4
	v_addc_co_u32_e32 v5, vcc, 0, v5, vcc
	v_mov_b32_e32 v14, s34
	s_mov_b32 s16, s33
	s_mov_b32 s33, s34
	s_waitcnt vmcnt(0)
	v_cmp_eq_u16_e32 vcc, 0, v13
	s_or_b64 s[14:15], vcc, s[14:15]
	s_andn2_b64 exec, exec, s[14:15]
	s_cbranch_execz .LBB0_179
.LBB0_166:                              ;   Parent Loop BB0_155 Depth=1
                                        ; =>  This Loop Header: Depth=2
                                        ;       Child Loop BB0_170 Depth 3
                                        ;         Child Loop BB0_174 Depth 4
	v_mov_b32_e32 v6, s33
	buffer_load_dword v15, v6, s[0:3], 0 offen offset:800
	s_mov_b32 s34, s16
	v_mov_b32_e32 v6, s16
	buffer_store_dword v8, v6, s[0:3], 0 offen offset:800
	s_waitcnt vmcnt(1)
	v_cmp_lt_i32_e32 vcc, 0, v15
	s_and_saveexec_b64 s[16:17], vcc
	s_cbranch_execz .LBB0_165
; %bb.167:                              ;   in Loop: Header=BB0_166 Depth=2
	v_mov_b32_e32 v14, 0
	s_mov_b64 s[18:19], 0
	s_mov_b32 s35, 0
	s_branch .LBB0_170
.LBB0_168:                              ;   in Loop: Header=BB0_170 Depth=3
	s_or_b64 exec, exec, s[22:23]
	v_mov_b32_e32 v6, s33
	buffer_load_dword v15, v6, s[0:3], 0 offen offset:800
.LBB0_169:                              ;   in Loop: Header=BB0_170 Depth=3
	s_or_b64 exec, exec, s[20:21]
	s_add_i32 s35, s35, 1
	s_waitcnt vmcnt(0)
	v_cmp_ge_i32_e32 vcc, s35, v15
	s_or_b64 s[18:19], vcc, s[18:19]
	s_andn2_b64 exec, exec, s[18:19]
	s_cbranch_execz .LBB0_165
.LBB0_170:                              ;   Parent Loop BB0_155 Depth=1
                                        ;     Parent Loop BB0_166 Depth=2
                                        ; =>    This Loop Header: Depth=3
                                        ;         Child Loop BB0_174 Depth 4
	s_lshl_b32 s20, s35, 3
	s_add_i32 s20, s33, s20
	v_mov_b32_e32 v16, s20
	buffer_load_dword v6, v16, s[0:3], 0 offen
	buffer_load_dword v7, v16, s[0:3], 0 offen offset:4
	s_waitcnt vmcnt(0)
	flat_load_dword v16, v[6:7]
	s_waitcnt vmcnt(0) lgkmcnt(0)
	v_cmp_eq_u32_sdwa s[20:21], v16, v13 src0_sel:DWORD src1_sel:BYTE_0
	v_cmp_eq_u32_e32 vcc, s30, v16
	s_or_b64 s[22:23], s[20:21], vcc
	s_and_saveexec_b64 s[20:21], s[22:23]
	s_cbranch_execz .LBB0_169
; %bb.171:                              ;   in Loop: Header=BB0_170 Depth=3
	flat_load_dwordx2 v[6:7], v[6:7] offset:8
	v_mov_b32_e32 v16, 1
	s_mov_b64 s[22:23], 0
	s_waitcnt vmcnt(0) lgkmcnt(0)
	buffer_store_dword v7, off, s[0:3], 0 offset:20
	buffer_store_dword v6, off, s[0:3], 0 offset:16
	s_branch .LBB0_174
.LBB0_172:                              ;   in Loop: Header=BB0_174 Depth=4
	s_or_b64 exec, exec, s[26:27]
.LBB0_173:                              ;   in Loop: Header=BB0_174 Depth=4
	s_or_b64 exec, exec, s[24:25]
	v_cmp_eq_u32_e32 vcc, 0, v15
	s_or_b64 s[22:23], vcc, s[22:23]
	v_mov_b32_e32 v16, v15
	s_andn2_b64 exec, exec, s[22:23]
	s_cbranch_execz .LBB0_168
.LBB0_174:                              ;   Parent Loop BB0_155 Depth=1
                                        ;     Parent Loop BB0_166 Depth=2
                                        ;       Parent Loop BB0_170 Depth=3
                                        ; =>      This Inner Loop Header: Depth=4
	v_add_u32_e32 v15, -1, v16
	v_lshl_add_u32 v17, v15, 3, v10
	buffer_load_dword v6, v17, s[0:3], 0 offen
	buffer_load_dword v7, v17, s[0:3], 0 offen offset:4
	s_waitcnt vmcnt(0)
	v_cmp_ne_u64_e32 vcc, 0, v[6:7]
	s_and_saveexec_b64 s[24:25], vcc
	s_cbranch_execz .LBB0_173
; %bb.175:                              ;   in Loop: Header=BB0_174 Depth=4
	flat_load_dword v18, v[6:7]
	s_waitcnt vmcnt(0) lgkmcnt(0)
	v_cmp_ne_u32_e32 vcc, s11, v18
	s_and_saveexec_b64 s[26:27], vcc
	s_xor_b64 s[26:27], exec, s[26:27]
	s_cbranch_execz .LBB0_177
; %bb.176:                              ;   in Loop: Header=BB0_174 Depth=4
	v_add_u32_e32 v16, 1, v14
	v_mov_b32_e32 v17, s34
	v_lshl_add_u32 v14, v14, 3, s34
	buffer_store_dword v16, v17, s[0:3], 0 offen offset:800
	buffer_store_dword v7, v14, s[0:3], 0 offen offset:4
	buffer_store_dword v6, v14, s[0:3], 0 offen
	v_mov_b32_e32 v14, v16
                                        ; implicit-def: $vgpr6_vgpr7
                                        ; implicit-def: $vgpr17
                                        ; implicit-def: $vgpr16
.LBB0_177:                              ;   in Loop: Header=BB0_174 Depth=4
	s_andn2_saveexec_b64 s[26:27], s[26:27]
	s_cbranch_execz .LBB0_172
; %bb.178:                              ;   in Loop: Header=BB0_174 Depth=4
	flat_load_dwordx4 v[18:21], v[6:7] offset:8
	v_add_u32_e32 v15, 1, v16
	v_lshl_add_u32 v6, v16, 3, v10
	s_waitcnt vmcnt(0) lgkmcnt(0)
	buffer_store_dword v19, v17, s[0:3], 0 offen offset:4
	buffer_store_dword v18, v17, s[0:3], 0 offen
	buffer_store_dword v21, v6, s[0:3], 0 offen offset:4
	buffer_store_dword v20, v6, s[0:3], 0 offen
	s_branch .LBB0_172
.LBB0_179:                              ;   in Loop: Header=BB0_155 Depth=1
	s_or_b64 exec, exec, s[14:15]
	buffer_load_dword v6, v14, s[0:3], 0 offen offset:800
.LBB0_180:                              ;   in Loop: Header=BB0_155 Depth=1
	s_or_b64 exec, exec, s[6:7]
	s_waitcnt vmcnt(0)
	v_cmp_lt_i32_e32 vcc, 0, v6
	v_mov_b32_e32 v4, 0
	s_and_saveexec_b64 s[6:7], vcc
	s_cbranch_execz .LBB0_154
; %bb.181:                              ;   in Loop: Header=BB0_155 Depth=1
	s_mov_b64 s[14:15], 0
                                        ; implicit-def: $sgpr16_sgpr17
	s_branch .LBB0_183
.LBB0_182:                              ;   in Loop: Header=BB0_183 Depth=2
	s_or_b64 exec, exec, s[18:19]
	s_and_b64 s[18:19], exec, s[16:17]
	s_or_b64 s[14:15], s[18:19], s[14:15]
	s_andn2_b64 exec, exec, s[14:15]
	s_cbranch_execz .LBB0_153
.LBB0_183:                              ;   Parent Loop BB0_155 Depth=1
                                        ; =>  This Inner Loop Header: Depth=2
	buffer_load_dword v4, v14, s[0:3], 0 offen
	buffer_load_dword v5, v14, s[0:3], 0 offen offset:4
	s_or_b64 s[16:17], s[16:17], exec
	s_waitcnt vmcnt(0)
	flat_load_dword v5, v[4:5]
	v_mov_b32_e32 v4, 1
	s_waitcnt vmcnt(0) lgkmcnt(0)
	v_cmp_ne_u32_e32 vcc, s31, v5
	s_and_saveexec_b64 s[18:19], vcc
	s_cbranch_execz .LBB0_182
; %bb.184:                              ;   in Loop: Header=BB0_183 Depth=2
	v_add_u32_e32 v6, -1, v6
	v_cmp_eq_u32_e32 vcc, 0, v6
	s_andn2_b64 s[16:17], s[16:17], exec
	s_and_b64 s[20:21], vcc, exec
	v_add_u32_e32 v14, 8, v14
	v_mov_b32_e32 v4, 0
	s_or_b64 s[16:17], s[16:17], s[20:21]
	s_branch .LBB0_182
.LBB0_185:
	s_endpgm
	.section	.rodata,"a",@progbits
	.p2align	6, 0x0
	.amdhsa_kernel _Z13parallelMatchPcPKjiS_S1_PhP5State
		.amdhsa_group_segment_fixed_size 12008
		.amdhsa_private_segment_fixed_size 17632
		.amdhsa_kernarg_size 312
		.amdhsa_user_sgpr_count 6
		.amdhsa_user_sgpr_private_segment_buffer 1
		.amdhsa_user_sgpr_dispatch_ptr 0
		.amdhsa_user_sgpr_queue_ptr 0
		.amdhsa_user_sgpr_kernarg_segment_ptr 1
		.amdhsa_user_sgpr_dispatch_id 0
		.amdhsa_user_sgpr_flat_scratch_init 0
		.amdhsa_user_sgpr_private_segment_size 0
		.amdhsa_uses_dynamic_stack 0
		.amdhsa_system_sgpr_private_segment_wavefront_offset 1
		.amdhsa_system_sgpr_workgroup_id_x 1
		.amdhsa_system_sgpr_workgroup_id_y 0
		.amdhsa_system_sgpr_workgroup_id_z 0
		.amdhsa_system_sgpr_workgroup_info 0
		.amdhsa_system_vgpr_workitem_id 0
		.amdhsa_next_free_vgpr 29
		.amdhsa_next_free_sgpr 61
		.amdhsa_reserve_vcc 1
		.amdhsa_reserve_flat_scratch 0
		.amdhsa_float_round_mode_32 0
		.amdhsa_float_round_mode_16_64 0
		.amdhsa_float_denorm_mode_32 3
		.amdhsa_float_denorm_mode_16_64 3
		.amdhsa_dx10_clamp 1
		.amdhsa_ieee_mode 1
		.amdhsa_fp16_overflow 0
		.amdhsa_exception_fp_ieee_invalid_op 0
		.amdhsa_exception_fp_denorm_src 0
		.amdhsa_exception_fp_ieee_div_zero 0
		.amdhsa_exception_fp_ieee_overflow 0
		.amdhsa_exception_fp_ieee_underflow 0
		.amdhsa_exception_fp_ieee_inexact 0
		.amdhsa_exception_int_div_zero 0
	.end_amdhsa_kernel
	.text
.Lfunc_end0:
	.size	_Z13parallelMatchPcPKjiS_S1_PhP5State, .Lfunc_end0-_Z13parallelMatchPcPKjiS_S1_PhP5State
                                        ; -- End function
	.set _Z13parallelMatchPcPKjiS_S1_PhP5State.num_vgpr, 22
	.set _Z13parallelMatchPcPKjiS_S1_PhP5State.num_agpr, 0
	.set _Z13parallelMatchPcPKjiS_S1_PhP5State.numbered_sgpr, 36
	.set _Z13parallelMatchPcPKjiS_S1_PhP5State.num_named_barrier, 0
	.set _Z13parallelMatchPcPKjiS_S1_PhP5State.private_seg_size, 17632
	.set _Z13parallelMatchPcPKjiS_S1_PhP5State.uses_vcc, 1
	.set _Z13parallelMatchPcPKjiS_S1_PhP5State.uses_flat_scratch, 0
	.set _Z13parallelMatchPcPKjiS_S1_PhP5State.has_dyn_sized_stack, 0
	.set _Z13parallelMatchPcPKjiS_S1_PhP5State.has_recursion, 0
	.set _Z13parallelMatchPcPKjiS_S1_PhP5State.has_indirect_call, 0
	.section	.AMDGPU.csdata,"",@progbits
; Kernel info:
; codeLenInByte = 5172
; TotalNumSgprs: 40
; NumVgprs: 22
; ScratchSize: 17632
; MemoryBound: 0
; FloatMode: 240
; IeeeMode: 1
; LDSByteSize: 12008 bytes/workgroup (compile time only)
; SGPRBlocks: 8
; VGPRBlocks: 7
; NumSGPRsForWavesPerEU: 65
; NumVGPRsForWavesPerEU: 29
; Occupancy: 8
; WaveLimiterHint : 1
; COMPUTE_PGM_RSRC2:SCRATCH_EN: 1
; COMPUTE_PGM_RSRC2:USER_SGPR: 6
; COMPUTE_PGM_RSRC2:TRAP_HANDLER: 0
; COMPUTE_PGM_RSRC2:TGID_X_EN: 1
; COMPUTE_PGM_RSRC2:TGID_Y_EN: 0
; COMPUTE_PGM_RSRC2:TGID_Z_EN: 0
; COMPUTE_PGM_RSRC2:TIDIG_COMP_CNT: 0
	.section	.AMDGPU.gpr_maximums,"",@progbits
	.set amdgpu.max_num_vgpr, 0
	.set amdgpu.max_num_agpr, 0
	.set amdgpu.max_num_sgpr, 0
	.section	.AMDGPU.csdata,"",@progbits
	.type	__hip_cuid_73275af91751b14f,@object ; @__hip_cuid_73275af91751b14f
	.section	.bss,"aw",@nobits
	.globl	__hip_cuid_73275af91751b14f
__hip_cuid_73275af91751b14f:
	.byte	0                               ; 0x0
	.size	__hip_cuid_73275af91751b14f, 1

	.ident	"AMD clang version 22.0.0git (https://github.com/RadeonOpenCompute/llvm-project roc-7.2.4 26084 f58b06dce1f9c15707c5f808fd002e18c2accf7e)"
	.section	".note.GNU-stack","",@progbits
	.addrsig
	.addrsig_sym __hip_cuid_73275af91751b14f
	.amdgpu_metadata
---
amdhsa.kernels:
  - .args:
      - .address_space:  global
        .offset:         0
        .size:           8
        .value_kind:     global_buffer
      - .address_space:  global
        .offset:         8
        .size:           8
        .value_kind:     global_buffer
      - .offset:         16
        .size:           4
        .value_kind:     by_value
      - .address_space:  global
        .offset:         24
        .size:           8
        .value_kind:     global_buffer
      - .address_space:  global
        .offset:         32
        .size:           8
        .value_kind:     global_buffer
      - .address_space:  global
        .offset:         40
        .size:           8
        .value_kind:     global_buffer
      - .address_space:  global
        .offset:         48
        .size:           8
        .value_kind:     global_buffer
      - .offset:         56
        .size:           4
        .value_kind:     hidden_block_count_x
      - .offset:         60
        .size:           4
        .value_kind:     hidden_block_count_y
      - .offset:         64
        .size:           4
        .value_kind:     hidden_block_count_z
      - .offset:         68
        .size:           2
        .value_kind:     hidden_group_size_x
      - .offset:         70
        .size:           2
        .value_kind:     hidden_group_size_y
      - .offset:         72
        .size:           2
        .value_kind:     hidden_group_size_z
      - .offset:         74
        .size:           2
        .value_kind:     hidden_remainder_x
      - .offset:         76
        .size:           2
        .value_kind:     hidden_remainder_y
      - .offset:         78
        .size:           2
        .value_kind:     hidden_remainder_z
      - .offset:         96
        .size:           8
        .value_kind:     hidden_global_offset_x
      - .offset:         104
        .size:           8
        .value_kind:     hidden_global_offset_y
      - .offset:         112
        .size:           8
        .value_kind:     hidden_global_offset_z
      - .offset:         120
        .size:           2
        .value_kind:     hidden_grid_dims
    .group_segment_fixed_size: 12008
    .kernarg_segment_align: 8
    .kernarg_segment_size: 312
    .language:       OpenCL C
    .language_version:
      - 2
      - 0
    .max_flat_workgroup_size: 1024
    .name:           _Z13parallelMatchPcPKjiS_S1_PhP5State
    .private_segment_fixed_size: 17632
    .sgpr_count:     40
    .sgpr_spill_count: 0
    .symbol:         _Z13parallelMatchPcPKjiS_S1_PhP5State.kd
    .uniform_work_group_size: 1
    .uses_dynamic_stack: false
    .vgpr_count:     22
    .vgpr_spill_count: 0
    .wavefront_size: 64
amdhsa.target:   amdgcn-amd-amdhsa--gfx906
amdhsa.version:
  - 1
  - 2
...

	.end_amdgpu_metadata
